;; amdgpu-corpus repo=ROCm/rocFFT kind=compiled arch=gfx1030 opt=O3
	.text
	.amdgcn_target "amdgcn-amd-amdhsa--gfx1030"
	.amdhsa_code_object_version 6
	.protected	fft_rtc_back_len1820_factors_10_13_7_2_wgs_182_tpt_182_halfLds_half_op_CI_CI_unitstride_sbrr_R2C_dirReg ; -- Begin function fft_rtc_back_len1820_factors_10_13_7_2_wgs_182_tpt_182_halfLds_half_op_CI_CI_unitstride_sbrr_R2C_dirReg
	.globl	fft_rtc_back_len1820_factors_10_13_7_2_wgs_182_tpt_182_halfLds_half_op_CI_CI_unitstride_sbrr_R2C_dirReg
	.p2align	8
	.type	fft_rtc_back_len1820_factors_10_13_7_2_wgs_182_tpt_182_halfLds_half_op_CI_CI_unitstride_sbrr_R2C_dirReg,@function
fft_rtc_back_len1820_factors_10_13_7_2_wgs_182_tpt_182_halfLds_half_op_CI_CI_unitstride_sbrr_R2C_dirReg: ; @fft_rtc_back_len1820_factors_10_13_7_2_wgs_182_tpt_182_halfLds_half_op_CI_CI_unitstride_sbrr_R2C_dirReg
; %bb.0:
	s_clause 0x2
	s_load_dwordx4 s[12:15], s[4:5], 0x0
	s_load_dwordx4 s[8:11], s[4:5], 0x58
	;; [unrolled: 1-line block ×3, first 2 shown]
	v_mul_u32_u24_e32 v1, 0x169, v0
	v_mov_b32_e32 v3, 0
	v_mov_b32_e32 v7, 0
	;; [unrolled: 1-line block ×3, first 2 shown]
	v_add_nc_u32_sdwa v9, s6, v1 dst_sel:DWORD dst_unused:UNUSED_PAD src0_sel:DWORD src1_sel:WORD_1
	v_mov_b32_e32 v10, v3
	s_waitcnt lgkmcnt(0)
	v_cmp_lt_u64_e64 s0, s[14:15], 2
	s_and_b32 vcc_lo, exec_lo, s0
	s_cbranch_vccnz .LBB0_8
; %bb.1:
	s_load_dwordx2 s[0:1], s[4:5], 0x10
	v_mov_b32_e32 v7, 0
	v_mov_b32_e32 v8, 0
	s_add_u32 s2, s18, 8
	s_addc_u32 s3, s19, 0
	v_mov_b32_e32 v1, v7
	s_add_u32 s6, s16, 8
	v_mov_b32_e32 v2, v8
	s_addc_u32 s7, s17, 0
	s_mov_b64 s[22:23], 1
	s_waitcnt lgkmcnt(0)
	s_add_u32 s20, s0, 8
	s_addc_u32 s21, s1, 0
.LBB0_2:                                ; =>This Inner Loop Header: Depth=1
	s_load_dwordx2 s[24:25], s[20:21], 0x0
                                        ; implicit-def: $vgpr5_vgpr6
	s_mov_b32 s0, exec_lo
	s_waitcnt lgkmcnt(0)
	v_or_b32_e32 v4, s25, v10
	v_cmpx_ne_u64_e32 0, v[3:4]
	s_xor_b32 s1, exec_lo, s0
	s_cbranch_execz .LBB0_4
; %bb.3:                                ;   in Loop: Header=BB0_2 Depth=1
	v_cvt_f32_u32_e32 v4, s24
	v_cvt_f32_u32_e32 v5, s25
	s_sub_u32 s0, 0, s24
	s_subb_u32 s26, 0, s25
	v_fmac_f32_e32 v4, 0x4f800000, v5
	v_rcp_f32_e32 v4, v4
	v_mul_f32_e32 v4, 0x5f7ffffc, v4
	v_mul_f32_e32 v5, 0x2f800000, v4
	v_trunc_f32_e32 v5, v5
	v_fmac_f32_e32 v4, 0xcf800000, v5
	v_cvt_u32_f32_e32 v5, v5
	v_cvt_u32_f32_e32 v4, v4
	v_mul_lo_u32 v6, s0, v5
	v_mul_hi_u32 v11, s0, v4
	v_mul_lo_u32 v12, s26, v4
	v_add_nc_u32_e32 v6, v11, v6
	v_mul_lo_u32 v11, s0, v4
	v_add_nc_u32_e32 v6, v6, v12
	v_mul_hi_u32 v12, v4, v11
	v_mul_lo_u32 v13, v4, v6
	v_mul_hi_u32 v14, v4, v6
	v_mul_hi_u32 v15, v5, v11
	v_mul_lo_u32 v11, v5, v11
	v_mul_hi_u32 v16, v5, v6
	v_mul_lo_u32 v6, v5, v6
	v_add_co_u32 v12, vcc_lo, v12, v13
	v_add_co_ci_u32_e32 v13, vcc_lo, 0, v14, vcc_lo
	v_add_co_u32 v11, vcc_lo, v12, v11
	v_add_co_ci_u32_e32 v11, vcc_lo, v13, v15, vcc_lo
	v_add_co_ci_u32_e32 v12, vcc_lo, 0, v16, vcc_lo
	v_add_co_u32 v6, vcc_lo, v11, v6
	v_add_co_ci_u32_e32 v11, vcc_lo, 0, v12, vcc_lo
	v_add_co_u32 v4, vcc_lo, v4, v6
	v_add_co_ci_u32_e32 v5, vcc_lo, v5, v11, vcc_lo
	v_mul_hi_u32 v6, s0, v4
	v_mul_lo_u32 v12, s26, v4
	v_mul_lo_u32 v11, s0, v5
	v_add_nc_u32_e32 v6, v6, v11
	v_mul_lo_u32 v11, s0, v4
	v_add_nc_u32_e32 v6, v6, v12
	v_mul_hi_u32 v12, v4, v11
	v_mul_lo_u32 v13, v4, v6
	v_mul_hi_u32 v14, v4, v6
	v_mul_hi_u32 v15, v5, v11
	v_mul_lo_u32 v11, v5, v11
	v_mul_hi_u32 v16, v5, v6
	v_mul_lo_u32 v6, v5, v6
	v_add_co_u32 v12, vcc_lo, v12, v13
	v_add_co_ci_u32_e32 v13, vcc_lo, 0, v14, vcc_lo
	v_add_co_u32 v11, vcc_lo, v12, v11
	v_add_co_ci_u32_e32 v11, vcc_lo, v13, v15, vcc_lo
	v_add_co_ci_u32_e32 v12, vcc_lo, 0, v16, vcc_lo
	v_add_co_u32 v6, vcc_lo, v11, v6
	v_add_co_ci_u32_e32 v11, vcc_lo, 0, v12, vcc_lo
	v_add_co_u32 v6, vcc_lo, v4, v6
	v_add_co_ci_u32_e32 v13, vcc_lo, v5, v11, vcc_lo
	v_mul_hi_u32 v15, v9, v6
	v_mad_u64_u32 v[11:12], null, v10, v6, 0
	v_mad_u64_u32 v[4:5], null, v9, v13, 0
	;; [unrolled: 1-line block ×3, first 2 shown]
	v_add_co_u32 v4, vcc_lo, v15, v4
	v_add_co_ci_u32_e32 v5, vcc_lo, 0, v5, vcc_lo
	v_add_co_u32 v4, vcc_lo, v4, v11
	v_add_co_ci_u32_e32 v4, vcc_lo, v5, v12, vcc_lo
	v_add_co_ci_u32_e32 v5, vcc_lo, 0, v14, vcc_lo
	v_add_co_u32 v11, vcc_lo, v4, v13
	v_add_co_ci_u32_e32 v6, vcc_lo, 0, v5, vcc_lo
	v_mul_lo_u32 v12, s25, v11
	v_mad_u64_u32 v[4:5], null, s24, v11, 0
	v_mul_lo_u32 v13, s24, v6
	v_sub_co_u32 v4, vcc_lo, v9, v4
	v_add3_u32 v5, v5, v13, v12
	v_sub_nc_u32_e32 v12, v10, v5
	v_subrev_co_ci_u32_e64 v12, s0, s25, v12, vcc_lo
	v_add_co_u32 v13, s0, v11, 2
	v_add_co_ci_u32_e64 v14, s0, 0, v6, s0
	v_sub_co_u32 v15, s0, v4, s24
	v_sub_co_ci_u32_e32 v5, vcc_lo, v10, v5, vcc_lo
	v_subrev_co_ci_u32_e64 v12, s0, 0, v12, s0
	v_cmp_le_u32_e32 vcc_lo, s24, v15
	v_cmp_eq_u32_e64 s0, s25, v5
	v_cndmask_b32_e64 v15, 0, -1, vcc_lo
	v_cmp_le_u32_e32 vcc_lo, s25, v12
	v_cndmask_b32_e64 v16, 0, -1, vcc_lo
	v_cmp_le_u32_e32 vcc_lo, s24, v4
	;; [unrolled: 2-line block ×3, first 2 shown]
	v_cndmask_b32_e64 v17, 0, -1, vcc_lo
	v_cmp_eq_u32_e32 vcc_lo, s25, v12
	v_cndmask_b32_e64 v4, v17, v4, s0
	v_cndmask_b32_e32 v12, v16, v15, vcc_lo
	v_add_co_u32 v15, vcc_lo, v11, 1
	v_add_co_ci_u32_e32 v16, vcc_lo, 0, v6, vcc_lo
	v_cmp_ne_u32_e32 vcc_lo, 0, v12
	v_cndmask_b32_e32 v5, v16, v14, vcc_lo
	v_cndmask_b32_e32 v12, v15, v13, vcc_lo
	v_cmp_ne_u32_e32 vcc_lo, 0, v4
	v_cndmask_b32_e32 v6, v6, v5, vcc_lo
	v_cndmask_b32_e32 v5, v11, v12, vcc_lo
.LBB0_4:                                ;   in Loop: Header=BB0_2 Depth=1
	s_andn2_saveexec_b32 s0, s1
	s_cbranch_execz .LBB0_6
; %bb.5:                                ;   in Loop: Header=BB0_2 Depth=1
	v_cvt_f32_u32_e32 v4, s24
	s_sub_i32 s1, 0, s24
	v_rcp_iflag_f32_e32 v4, v4
	v_mul_f32_e32 v4, 0x4f7ffffe, v4
	v_cvt_u32_f32_e32 v4, v4
	v_mul_lo_u32 v5, s1, v4
	v_mul_hi_u32 v5, v4, v5
	v_add_nc_u32_e32 v4, v4, v5
	v_mul_hi_u32 v4, v9, v4
	v_mul_lo_u32 v5, v4, s24
	v_add_nc_u32_e32 v6, 1, v4
	v_sub_nc_u32_e32 v5, v9, v5
	v_subrev_nc_u32_e32 v11, s24, v5
	v_cmp_le_u32_e32 vcc_lo, s24, v5
	v_cndmask_b32_e32 v5, v5, v11, vcc_lo
	v_cndmask_b32_e32 v4, v4, v6, vcc_lo
	v_cmp_le_u32_e32 vcc_lo, s24, v5
	v_add_nc_u32_e32 v6, 1, v4
	v_cndmask_b32_e32 v5, v4, v6, vcc_lo
	v_mov_b32_e32 v6, v3
.LBB0_6:                                ;   in Loop: Header=BB0_2 Depth=1
	s_or_b32 exec_lo, exec_lo, s0
	v_mul_lo_u32 v4, v6, s24
	v_mul_lo_u32 v13, v5, s25
	s_load_dwordx2 s[0:1], s[6:7], 0x0
	v_mad_u64_u32 v[11:12], null, v5, s24, 0
	s_load_dwordx2 s[24:25], s[2:3], 0x0
	s_add_u32 s22, s22, 1
	s_addc_u32 s23, s23, 0
	s_add_u32 s2, s2, 8
	s_addc_u32 s3, s3, 0
	s_add_u32 s6, s6, 8
	v_add3_u32 v4, v12, v13, v4
	v_sub_co_u32 v9, vcc_lo, v9, v11
	s_addc_u32 s7, s7, 0
	s_add_u32 s20, s20, 8
	v_sub_co_ci_u32_e32 v4, vcc_lo, v10, v4, vcc_lo
	s_addc_u32 s21, s21, 0
	s_waitcnt lgkmcnt(0)
	v_mul_lo_u32 v10, s0, v4
	v_mul_lo_u32 v11, s1, v9
	v_mad_u64_u32 v[7:8], null, s0, v9, v[7:8]
	v_mul_lo_u32 v4, s24, v4
	v_mul_lo_u32 v12, s25, v9
	v_mad_u64_u32 v[1:2], null, s24, v9, v[1:2]
	v_cmp_ge_u64_e64 s0, s[22:23], s[14:15]
	v_add3_u32 v8, v11, v8, v10
	v_add3_u32 v2, v12, v2, v4
	s_and_b32 vcc_lo, exec_lo, s0
	s_cbranch_vccnz .LBB0_9
; %bb.7:                                ;   in Loop: Header=BB0_2 Depth=1
	v_mov_b32_e32 v10, v6
	v_mov_b32_e32 v9, v5
	s_branch .LBB0_2
.LBB0_8:
	v_mov_b32_e32 v1, v7
	v_mov_b32_e32 v5, v9
	;; [unrolled: 1-line block ×4, first 2 shown]
.LBB0_9:
	s_load_dwordx2 s[0:1], s[4:5], 0x28
	v_mul_hi_u32 v4, 0x1681682, v0
	s_lshl_b64 s[4:5], s[14:15], 3
                                        ; implicit-def: $vgpr3
	s_add_u32 s2, s18, s4
	s_addc_u32 s3, s19, s5
	s_waitcnt lgkmcnt(0)
	v_cmp_gt_u64_e32 vcc_lo, s[0:1], v[5:6]
	v_cmp_le_u64_e64 s0, s[0:1], v[5:6]
	s_and_saveexec_b32 s1, s0
	s_xor_b32 s0, exec_lo, s1
; %bb.10:
	v_mul_u32_u24_e32 v3, 0xb6, v4
                                        ; implicit-def: $vgpr4
                                        ; implicit-def: $vgpr7_vgpr8
	v_sub_nc_u32_e32 v3, v0, v3
                                        ; implicit-def: $vgpr0
; %bb.11:
	s_andn2_saveexec_b32 s1, s0
	s_cbranch_execz .LBB0_13
; %bb.12:
	s_add_u32 s4, s16, s4
	s_addc_u32 s5, s17, s5
	v_lshlrev_b64 v[7:8], 2, v[7:8]
	s_load_dwordx2 s[4:5], s[4:5], 0x0
	s_waitcnt lgkmcnt(0)
	v_mul_lo_u32 v3, s5, v5
	v_mul_lo_u32 v11, s4, v6
	v_mad_u64_u32 v[9:10], null, s4, v5, 0
	v_add3_u32 v10, v10, v11, v3
	v_mul_u32_u24_e32 v3, 0xb6, v4
	v_lshlrev_b64 v[9:10], 2, v[9:10]
	v_sub_nc_u32_e32 v3, v0, v3
	v_lshlrev_b32_e32 v15, 2, v3
	v_add_co_u32 v0, s0, s8, v9
	v_add_co_ci_u32_e64 v4, s0, s9, v10, s0
	v_add_co_u32 v0, s0, v0, v7
	v_add_co_ci_u32_e64 v4, s0, v4, v8, s0
	;; [unrolled: 2-line block ×6, first 2 shown]
	s_clause 0x9
	global_load_dword v0, v[7:8], off
	global_load_dword v4, v[7:8], off offset:728
	global_load_dword v7, v[7:8], off offset:1456
	;; [unrolled: 1-line block ×9, first 2 shown]
	v_add_nc_u32_e32 v13, 0, v15
	v_add_nc_u32_e32 v14, 0x500, v13
	;; [unrolled: 1-line block ×5, first 2 shown]
	s_waitcnt vmcnt(8)
	ds_write2_b32 v13, v0, v4 offset1:182
	s_waitcnt vmcnt(6)
	ds_write2_b32 v14, v7, v8 offset0:44 offset1:226
	s_waitcnt vmcnt(4)
	ds_write2_b32 v15, v16, v9 offset0:24 offset1:206
	;; [unrolled: 2-line block ×4, first 2 shown]
.LBB0_13:
	s_or_b32 exec_lo, exec_lo, s1
	v_lshl_add_u32 v0, v3, 2, 0
	s_load_dwordx2 s[2:3], s[2:3], 0x0
	s_waitcnt lgkmcnt(0)
	s_barrier
	buffer_gl0_inv
	v_add_nc_u32_e32 v9, 0x500, v0
	v_add_nc_u32_e32 v11, 0xb00, v0
	;; [unrolled: 1-line block ×4, first 2 shown]
	ds_read2_b32 v[7:8], v0 offset1:182
	ds_read2_b32 v[9:10], v9 offset0:44 offset1:226
	ds_read2_b32 v[11:12], v11 offset0:24 offset1:206
	;; [unrolled: 1-line block ×4, first 2 shown]
	s_waitcnt lgkmcnt(0)
	s_barrier
	buffer_gl0_inv
	v_cmp_gt_u32_e64 s0, 0x8c, v3
                                        ; implicit-def: $vgpr47
                                        ; implicit-def: $vgpr48
                                        ; implicit-def: $vgpr46
                                        ; implicit-def: $vgpr49
	v_lshrrev_b32_e32 v17, 16, v7
	v_pk_add_f16 v26, v7, v9
	v_sub_f16_e32 v22, v9, v11
	v_add_f16_e32 v18, v11, v13
	v_sub_f16_e32 v21, v15, v13
	v_add_f16_e32 v23, v9, v15
	v_sub_f16_sdwa v20, v11, v13 dst_sel:DWORD dst_unused:UNUSED_PAD src0_sel:WORD_1 src1_sel:WORD_1
	v_sub_f16_e32 v24, v13, v15
	v_sub_f16_e32 v25, v11, v9
	v_add_f16_sdwa v27, v11, v13 dst_sel:DWORD dst_unused:UNUSED_PAD src0_sel:WORD_1 src1_sel:WORD_1
	v_add_f16_e32 v21, v22, v21
	v_fma_f16 v22, -0.5, v23, v7
	v_sub_f16_sdwa v19, v9, v15 dst_sel:DWORD dst_unused:UNUSED_PAD src0_sel:WORD_1 src1_sel:WORD_1
	v_fma_f16 v18, -0.5, v18, v7
	v_add_f16_e32 v7, v25, v24
	v_fma_f16 v24, -0.5, v27, v17
	v_fmamk_f16 v27, v20, 0x3b9c, v22
	v_fmac_f16_e32 v22, 0xbb9c, v20
	v_sub_f16_e32 v28, v9, v15
	v_sub_f16_sdwa v30, v9, v11 dst_sel:DWORD dst_unused:UNUSED_PAD src0_sel:WORD_1 src1_sel:WORD_1
	v_sub_f16_sdwa v31, v15, v13 dst_sel:DWORD dst_unused:UNUSED_PAD src0_sel:WORD_1 src1_sel:WORD_1
	v_fmac_f16_e32 v27, 0xb8b4, v19
	v_fmac_f16_e32 v22, 0x38b4, v19
	v_sub_f16_e32 v29, v11, v13
	v_pk_add_f16 v23, v26, v11
	v_add_f16_e32 v25, v30, v31
	v_fmamk_f16 v26, v19, 0xbb9c, v18
	v_fmac_f16_e32 v18, 0x3b9c, v19
	v_fmamk_f16 v30, v28, 0x3b9c, v24
	v_fmac_f16_e32 v27, 0x34f2, v7
	v_fmac_f16_e32 v22, 0x34f2, v7
	;; [unrolled: 1-line block ×3, first 2 shown]
	v_add_f16_e32 v7, v12, v14
	v_add_f16_sdwa v32, v9, v15 dst_sel:DWORD dst_unused:UNUSED_PAD src0_sel:WORD_1 src1_sel:WORD_1
	v_pk_add_f16 v23, v23, v13
	v_fmac_f16_e32 v26, 0xb8b4, v20
	v_fmac_f16_e32 v18, 0x38b4, v20
	;; [unrolled: 1-line block ×4, first 2 shown]
	v_sub_f16_sdwa v9, v11, v9 dst_sel:DWORD dst_unused:UNUSED_PAD src0_sel:WORD_1 src1_sel:WORD_1
	v_sub_f16_sdwa v11, v13, v15 dst_sel:DWORD dst_unused:UNUSED_PAD src0_sel:WORD_1 src1_sel:WORD_1
	v_fma_f16 v7, -0.5, v7, v8
	v_sub_f16_sdwa v13, v10, v16 dst_sel:DWORD dst_unused:UNUSED_PAD src0_sel:WORD_1 src1_sel:WORD_1
	v_fmac_f16_e32 v17, -0.5, v32
	v_fmac_f16_e32 v26, 0x34f2, v21
	v_fmac_f16_e32 v18, 0x34f2, v21
	v_pk_add_f16 v19, v23, v15
	v_fmac_f16_e32 v30, 0x34f2, v25
	v_fmac_f16_e32 v24, 0x34f2, v25
	v_add_f16_e32 v9, v9, v11
	v_fmamk_f16 v11, v13, 0xbb9c, v7
	v_sub_f16_sdwa v15, v12, v14 dst_sel:DWORD dst_unused:UNUSED_PAD src0_sel:WORD_1 src1_sel:WORD_1
	v_sub_f16_e32 v21, v16, v14
	v_sub_f16_e32 v23, v10, v12
	v_fmac_f16_e32 v7, 0x3b9c, v13
	v_add_f16_e32 v25, v10, v16
	v_fmamk_f16 v20, v29, 0xbb9c, v17
	v_fmac_f16_e32 v17, 0x3b9c, v29
	v_fmac_f16_e32 v11, 0xb8b4, v15
	v_add_f16_e32 v21, v23, v21
	v_fmac_f16_e32 v7, 0x38b4, v15
	v_fma_f16 v23, -0.5, v25, v8
	v_fmac_f16_e32 v20, 0x38b4, v28
	v_fmac_f16_e32 v17, 0xb8b4, v28
	;; [unrolled: 1-line block ×4, first 2 shown]
	v_fmamk_f16 v21, v15, 0x3b9c, v23
	v_fmac_f16_e32 v23, 0xbb9c, v15
	v_fmac_f16_e32 v20, 0x34f2, v9
	;; [unrolled: 1-line block ×3, first 2 shown]
	v_sub_f16_e32 v9, v14, v16
	v_sub_f16_e32 v25, v12, v10
	v_add_f16_sdwa v15, v12, v14 dst_sel:DWORD dst_unused:UNUSED_PAD src0_sel:WORD_1 src1_sel:WORD_1
	v_lshrrev_b32_e32 v28, 16, v8
	v_fmac_f16_e32 v21, 0xb8b4, v13
	v_fmac_f16_e32 v23, 0x38b4, v13
	v_add_f16_sdwa v13, v10, v16 dst_sel:DWORD dst_unused:UNUSED_PAD src0_sel:WORD_1 src1_sel:WORD_1
	v_add_f16_e32 v9, v25, v9
	v_fma_f16 v15, -0.5, v15, v28
	v_sub_f16_e32 v25, v10, v16
	v_sub_f16_e32 v29, v12, v14
	v_fmac_f16_e32 v28, -0.5, v13
	v_fmac_f16_e32 v21, 0x34f2, v9
	v_fmac_f16_e32 v23, 0x34f2, v9
	v_fmamk_f16 v31, v25, 0x3b9c, v15
	v_sub_f16_sdwa v9, v10, v12 dst_sel:DWORD dst_unused:UNUSED_PAD src0_sel:WORD_1 src1_sel:WORD_1
	v_sub_f16_sdwa v13, v16, v14 dst_sel:DWORD dst_unused:UNUSED_PAD src0_sel:WORD_1 src1_sel:WORD_1
	v_fmamk_f16 v32, v29, 0xbb9c, v28
	v_sub_f16_sdwa v33, v12, v10 dst_sel:DWORD dst_unused:UNUSED_PAD src0_sel:WORD_1 src1_sel:WORD_1
	v_sub_f16_sdwa v34, v14, v16 dst_sel:DWORD dst_unused:UNUSED_PAD src0_sel:WORD_1 src1_sel:WORD_1
	v_fmac_f16_e32 v28, 0x3b9c, v29
	v_fmac_f16_e32 v31, 0x38b4, v29
	v_add_f16_e32 v9, v9, v13
	v_fmac_f16_e32 v15, 0xbb9c, v25
	v_fmac_f16_e32 v32, 0x38b4, v25
	v_add_f16_e32 v13, v33, v34
	v_fmac_f16_e32 v28, 0xb8b4, v25
	v_pk_add_f16 v8, v8, v10
	v_fmac_f16_e32 v31, 0x34f2, v9
	v_fmac_f16_e32 v15, 0xb8b4, v29
	v_fmac_f16_e32 v32, 0x34f2, v13
	v_fmac_f16_e32 v28, 0x34f2, v13
	v_pk_add_f16 v8, v8, v12
	v_mul_f16_e32 v12, 0xb8b4, v31
	v_fmac_f16_e32 v15, 0x34f2, v9
	v_mul_f16_e32 v38, 0x38b4, v11
	v_mul_f16_e32 v25, 0xbb9c, v32
	;; [unrolled: 1-line block ×5, first 2 shown]
	v_pk_add_f16 v8, v8, v14
	v_fmac_f16_e32 v12, 0x3a79, v11
	v_mul_f16_e32 v14, 0xb8b4, v15
	v_fmac_f16_e32 v38, 0x3a79, v31
	v_fmac_f16_e32 v25, 0x34f2, v21
	;; [unrolled: 1-line block ×5, first 2 shown]
	v_pk_add_f16 v34, v8, v16
	v_add_f16_e32 v8, v26, v12
	v_fmac_f16_e32 v14, 0xba79, v7
	v_mul_f16_e32 v39, 0xba79, v15
	v_add_f16_e32 v33, v30, v38
	v_add_f16_e32 v9, v27, v25
	;; [unrolled: 1-line block ×6, first 2 shown]
	v_fmac_f16_e32 v39, 0x38b4, v7
	v_pk_add_f16 v7, v19, v34
	v_sub_f16_e32 v15, v26, v12
	v_sub_f16_e32 v12, v18, v14
	;; [unrolled: 1-line block ×3, first 2 shown]
	v_mad_u32_u24 v17, v3, 36, v0
	v_pack_b32_f16 v14, v8, v33
	v_sub_f16_e32 v45, v20, v32
	v_pack_b32_f16 v18, v10, v36
	v_pack_b32_f16 v20, v9, v35
	v_add_f16_e32 v37, v24, v39
	v_sub_f16_e32 v11, v22, v29
	v_sub_f16_e32 v29, v24, v39
	ds_write2_b32 v17, v7, v14 offset1:1
	ds_write2_b32 v17, v20, v18 offset0:2 offset1:3
	v_pk_add_f16 v14, v19, v34 neg_lo:[0,1] neg_hi:[0,1]
	v_sub_f16_e32 v16, v27, v25
	v_sub_f16_e32 v38, v30, v38
	v_pack_b32_f16 v18, v13, v37
	v_pack_b32_f16 v21, v12, v29
	;; [unrolled: 1-line block ×3, first 2 shown]
	v_lshrrev_b32_e32 v39, 16, v14
	v_pack_b32_f16 v19, v16, v45
	v_pack_b32_f16 v20, v15, v38
	ds_write2_b32 v17, v18, v14 offset0:4 offset1:5
	ds_write2_b32 v17, v20, v19 offset0:6 offset1:7
	;; [unrolled: 1-line block ×3, first 2 shown]
	s_waitcnt lgkmcnt(0)
	s_barrier
	buffer_gl0_inv
                                        ; implicit-def: $vgpr18
	s_and_saveexec_b32 s1, s0
	s_cbranch_execz .LBB0_15
; %bb.14:
	v_add_nc_u32_e32 v9, 0x1500, v0
	ds_read2_b32 v[11:12], v4 offset0:96 offset1:236
	v_add_nc_u32_e32 v4, 0x400, v0
	v_add_nc_u32_e32 v13, 0x800, v0
	;; [unrolled: 1-line block ×3, first 2 shown]
	ds_read2_b32 v[7:8], v0 offset1:140
	ds_read_b32 v46, v0 offset:6720
	ds_read2_b32 v[17:18], v9 offset0:56 offset1:196
	ds_read2_b32 v[9:10], v4 offset0:24 offset1:164
	;; [unrolled: 1-line block ×4, first 2 shown]
	s_waitcnt lgkmcnt(6)
	v_lshrrev_b32_e32 v26, 16, v11
	v_lshrrev_b32_e32 v29, 16, v12
	s_waitcnt lgkmcnt(5)
	v_lshrrev_b32_e32 v33, 16, v8
	s_waitcnt lgkmcnt(4)
	;; [unrolled: 2-line block ×3, first 2 shown]
	v_lshrrev_b32_e32 v49, 16, v17
	v_lshrrev_b32_e32 v47, 16, v18
	s_waitcnt lgkmcnt(2)
	v_lshrrev_b32_e32 v35, 16, v9
	v_lshrrev_b32_e32 v36, 16, v10
	s_waitcnt lgkmcnt(1)
	;; [unrolled: 3-line block ×3, first 2 shown]
	v_lshrrev_b32_e32 v38, 16, v15
	v_lshrrev_b32_e32 v45, 16, v16
.LBB0_15:
	s_or_b32 exec_lo, exec_lo, s1
	v_and_b32_e32 v4, 0xff, v3
	v_mov_b32_e32 v20, 12
	v_mul_lo_u16 v4, 0xcd, v4
	v_lshrrev_b16 v4, 11, v4
	v_mul_lo_u16 v19, v4, 10
	v_sub_nc_u16 v19, v3, v19
	v_mul_u32_u24_sdwa v20, v19, v20 dst_sel:DWORD dst_unused:UNUSED_PAD src0_sel:BYTE_0 src1_sel:DWORD
	v_lshlrev_b32_e32 v20, 2, v20
	s_clause 0x2
	global_load_dwordx4 v[50:53], v20, s[12:13]
	global_load_dwordx4 v[54:57], v20, s[12:13] offset:16
	global_load_dwordx4 v[58:61], v20, s[12:13] offset:32
	s_waitcnt vmcnt(0)
	s_barrier
	buffer_gl0_inv
	v_mul_f16_sdwa v34, v33, v50 dst_sel:DWORD dst_unused:UNUSED_PAD src0_sel:DWORD src1_sel:WORD_1
	v_mul_f16_sdwa v40, v8, v50 dst_sel:DWORD dst_unused:UNUSED_PAD src0_sel:DWORD src1_sel:WORD_1
	;; [unrolled: 1-line block ×12, first 2 shown]
	v_fma_f16 v44, v33, v50, -v40
	v_fmac_f16_e32 v34, v8, v50
	v_fma_f16 v8, v48, v61, -v70
	v_mul_f16_sdwa v30, v37, v53 dst_sel:DWORD dst_unused:UNUSED_PAD src0_sel:DWORD src1_sel:WORD_1
	v_mul_f16_sdwa v63, v14, v54 dst_sel:DWORD dst_unused:UNUSED_PAD src0_sel:DWORD src1_sel:WORD_1
	;; [unrolled: 1-line block ×9, first 2 shown]
	v_fmac_f16_e32 v32, v9, v51
	v_fmac_f16_e32 v31, v10, v52
	v_fma_f16 v43, v35, v51, -v41
	v_fma_f16 v42, v36, v52, -v42
	;; [unrolled: 1-line block ×4, first 2 shown]
	v_fmac_f16_e32 v22, v46, v61
	v_fma_f16 v35, v49, v59, -v68
	v_fma_f16 v33, v47, v60, -v69
	v_add_f16_e32 v9, v44, v8
	v_sub_f16_e32 v10, v44, v8
	v_mul_f16_sdwa v28, v39, v54 dst_sel:DWORD dst_unused:UNUSED_PAD src0_sel:DWORD src1_sel:WORD_1
	v_mul_f16_sdwa v25, v45, v56 dst_sel:DWORD dst_unused:UNUSED_PAD src0_sel:DWORD src1_sel:WORD_1
	;; [unrolled: 1-line block ×3, first 2 shown]
	v_fmac_f16_e32 v30, v13, v53
	v_fma_f16 v40, v39, v54, -v63
	v_fmac_f16_e32 v27, v15, v55
	v_fma_f16 v39, v38, v55, -v64
	v_fma_f16 v38, v45, v56, -v65
	v_fmac_f16_e32 v24, v11, v57
	v_fma_f16 v37, v26, v57, -v66
	v_fmac_f16_e32 v20, v12, v58
	v_fmac_f16_e32 v23, v18, v60
	v_add_f16_e32 v60, v34, v22
	v_sub_f16_e32 v61, v34, v22
	v_add_f16_e32 v11, v43, v33
	v_sub_f16_e32 v12, v43, v33
	v_sub_f16_e32 v13, v42, v35
	;; [unrolled: 1-line block ×3, first 2 shown]
	v_mul_f16_e32 v45, 0xb770, v10
	v_mul_f16_e32 v48, 0x3b15, v9
	;; [unrolled: 1-line block ×12, first 2 shown]
	v_fmac_f16_e32 v28, v14, v54
	v_fmac_f16_e32 v25, v16, v56
	;; [unrolled: 1-line block ×3, first 2 shown]
	v_add_f16_e32 v51, v32, v23
	v_sub_f16_e32 v55, v32, v23
	v_add_f16_e32 v14, v42, v35
	v_add_f16_e32 v16, v41, v36
	v_sub_f16_e32 v17, v40, v37
	v_add_f16_e32 v18, v40, v37
	v_sub_f16_e32 v26, v39, v38
	v_add_f16_e32 v29, v39, v38
	v_mul_f16_e32 v46, 0xba95, v12
	v_mul_f16_e32 v49, 0x388b, v11
	v_mul_f16_e32 v65, 0xbb7b, v12
	v_mul_f16_e32 v73, 0xb5ac, v11
	v_mul_f16_e32 v80, 0xb3a8, v12
	v_mul_f16_e32 v88, 0xbbc4, v11
	v_mul_f16_e32 v94, 0x394e, v12
	v_mul_f16_e32 v103, 0xb9fd, v11
	v_mul_f16_e32 v108, 0x3bf1, v12
	v_mul_f16_e32 v111, 0x2fb7, v11
	v_mul_f16_e32 v115, 0x3770, v12
	v_mul_f16_e32 v123, 0x3b15, v11
	v_mul_f16_e32 v47, 0xbbf1, v13
	v_mul_f16_e32 v68, 0xb3a8, v13
	v_mul_f16_e32 v81, 0x3b7b, v13
	v_mul_f16_e32 v95, 0x3770, v13
	v_mul_f16_e32 v109, 0xba95, v13
	v_mul_f16_e32 v118, 0xb94e, v13
	v_mul_f16_e32 v50, 0xbb7b, v15
	v_mul_f16_e32 v62, 0x394e, v15
	v_mul_f16_e32 v83, 0x3770, v15
	v_mul_f16_e32 v96, 0xbbf1, v15
	v_mul_f16_e32 v107, 0x33a8, v15
	v_mul_f16_e32 v117, 0x3a95, v15
	v_fma_f16 v9, v60, 0x3b15, -v45
	v_fmamk_f16 v10, v61, 0xb770, v48
	v_fma_f16 v11, v60, 0x388b, -v64
	v_fmamk_f16 v12, v61, 0xba95, v72
	;; [unrolled: 2-line block ×6, first 2 shown]
	v_add_f16_e32 v66, v31, v21
	v_sub_f16_e32 v67, v31, v21
	v_mul_f16_e32 v53, 0x2fb7, v14
	v_mul_f16_e32 v76, 0xbbc4, v14
	;; [unrolled: 1-line block ×36, first 2 shown]
	v_fma_f16 v14, v51, 0x388b, -v46
	v_fmamk_f16 v16, v55, 0xba95, v49
	v_fma_f16 v17, v51, 0xb5ac, -v65
	v_fmamk_f16 v18, v55, 0xbb7b, v73
	;; [unrolled: 2-line block ×6, first 2 shown]
	v_add_f16_e32 v9, v7, v9
	v_add_f16_sdwa v10, v7, v10 dst_sel:DWORD dst_unused:UNUSED_PAD src0_sel:WORD_1 src1_sel:DWORD
	v_add_f16_e32 v11, v7, v11
	v_add_f16_sdwa v12, v7, v12 dst_sel:DWORD dst_unused:UNUSED_PAD src0_sel:WORD_1 src1_sel:DWORD
	;; [unrolled: 2-line block ×6, first 2 shown]
	v_add_f16_e32 v69, v30, v20
	v_sub_f16_e32 v71, v30, v20
	v_fma_f16 v141, v66, 0x2fb7, -v47
	v_fmamk_f16 v142, v67, 0xbbf1, v53
	v_add_f16_e32 v9, v14, v9
	v_fma_f16 v14, v66, 0xbbc4, -v68
	v_add_f16_e32 v10, v16, v10
	v_fmamk_f16 v16, v67, 0xb3a8, v76
	v_add_f16_e32 v11, v17, v11
	v_fma_f16 v17, v66, 0xb5ac, -v81
	v_add_f16_e32 v12, v18, v12
	v_fmamk_f16 v18, v67, 0x3b7b, v89
	v_add_f16_e32 v13, v26, v13
	v_fma_f16 v26, v66, 0x3b15, -v95
	v_add_f16_e32 v15, v29, v15
	v_fmamk_f16 v29, v67, 0x3770, v101
	v_add_f16_e32 v129, v130, v129
	v_fma_f16 v130, v66, 0x388b, -v109
	v_add_f16_e32 v131, v132, v131
	v_fmamk_f16 v132, v67, 0xba95, v113
	v_add_f16_e32 v133, v134, v133
	v_fma_f16 v134, v66, 0xb9fd, -v118
	v_add_f16_e32 v135, v136, v135
	v_fmamk_f16 v136, v67, 0xb94e, v124
	v_add_f16_e32 v137, v138, v137
	v_add_f16_e32 v139, v140, v139
	v_add_f16_e32 v74, v28, v24
	v_sub_f16_e32 v77, v28, v24
	v_fma_f16 v138, v69, 0xb5ac, -v50
	v_fmamk_f16 v140, v71, 0xbb7b, v56
	v_add_f16_e32 v9, v141, v9
	v_fma_f16 v141, v69, 0xb9fd, -v62
	v_add_f16_e32 v10, v142, v10
	v_fmamk_f16 v142, v71, 0x394e, v75
	v_add_f16_e32 v11, v14, v11
	v_fma_f16 v14, v69, 0x3b15, -v83
	v_add_f16_e32 v12, v16, v12
	v_fmamk_f16 v16, v71, 0x3770, v87
	v_add_f16_e32 v13, v17, v13
	v_fma_f16 v17, v69, 0x2fb7, -v96
	v_add_f16_e32 v15, v18, v15
	v_fmamk_f16 v18, v71, 0xbbf1, v100
	v_add_f16_e32 v26, v26, v129
	v_fma_f16 v129, v69, 0xbbc4, -v107
	v_add_f16_e32 v29, v29, v131
	v_fmamk_f16 v131, v71, 0x33a8, v112
	v_add_f16_e32 v130, v130, v133
	v_fma_f16 v133, v69, 0x388b, -v117
	v_add_f16_e32 v132, v132, v135
	v_fmamk_f16 v135, v71, 0x3a95, v125
	v_add_f16_e32 v134, v134, v137
	v_add_f16_e32 v136, v136, v139
	;; [unrolled: 26-line block ×3, first 2 shown]
	v_fma_f16 v134, v85, 0xbbc4, -v52
	v_fmamk_f16 v136, v90, 0xb3a8, v59
	v_add_f16_e32 v9, v137, v9
	v_fma_f16 v137, v85, 0x3b15, -v58
	v_add_f16_e32 v10, v139, v10
	v_fmamk_f16 v139, v90, 0x3770, v70
	v_add_f16_e32 v11, v138, v11
	v_fma_f16 v138, v85, 0xb9fd, -v84
	v_add_f16_e32 v140, v140, v12
	;; [unrolled: 4-line block ×5, first 2 shown]
	v_fmamk_f16 v131, v90, 0x3bf1, v128
	v_add_f16_e32 v130, v130, v133
	v_add_f16_e32 v132, v132, v135
	;; [unrolled: 1-line block ×14, first 2 shown]
	s_and_saveexec_b32 s1, s0
	s_cbranch_execz .LBB0_17
; %bb.16:
	v_mul_f16_e32 v129, 0xb3a8, v61
	v_mul_f16_e32 v133, 0x3770, v55
	;; [unrolled: 1-line block ×5, first 2 shown]
	v_sub_f16_e32 v127, v127, v129
	v_sub_f16_e32 v123, v123, v133
	;; [unrolled: 1-line block ×4, first 2 shown]
	v_mul_f16_e32 v130, 0x3b15, v60
	v_add_f16_sdwa v127, v7, v127 dst_sel:DWORD dst_unused:UNUSED_PAD src0_sel:WORD_1 src1_sel:DWORD
	v_mul_f16_e32 v132, 0x388b, v60
	v_mul_f16_e32 v134, 0x2fb7, v60
	;; [unrolled: 1-line block ×4, first 2 shown]
	v_add_f16_e32 v123, v123, v127
	v_mul_f16_e32 v60, 0xbbc4, v60
	v_sub_f16_e32 v126, v126, v138
	v_mul_f16_e32 v131, 0xb770, v61
	v_mul_f16_e32 v129, 0xba95, v61
	v_add_f16_e32 v123, v124, v123
	v_add_f16_e32 v60, v60, v122
	v_mul_f16_e32 v133, 0xbbf1, v61
	v_mul_f16_e32 v127, 0xbb7b, v61
	;; [unrolled: 1-line block ×3, first 2 shown]
	v_add_f16_e32 v123, v125, v123
	v_mul_f16_e32 v137, 0x3bf1, v90
	v_add_f16_e32 v60, v7, v60
	v_mul_f16_e32 v124, 0x388b, v51
	v_sub_f16_e32 v61, v116, v61
	v_add_f16_e32 v122, v126, v123
	v_mul_f16_e32 v123, 0x3b15, v51
	v_sub_f16_e32 v126, v128, v137
	v_mul_f16_e32 v128, 0x3bf1, v55
	v_add_f16_sdwa v61, v7, v61 dst_sel:DWORD dst_unused:UNUSED_PAD src0_sel:WORD_1 src1_sel:DWORD
	v_mul_f16_e32 v138, 0xb5ac, v51
	v_add_f16_e32 v115, v123, v115
	v_mul_f16_e32 v123, 0xb9fd, v66
	v_sub_f16_e32 v111, v111, v128
	v_mul_f16_e32 v128, 0xbbc4, v51
	v_add_f16_e32 v110, v135, v110
	v_add_f16_e32 v60, v115, v60
	v_mul_f16_e32 v115, 0xba95, v67
	v_add_f16_e32 v118, v123, v118
	v_add_f16_e32 v61, v111, v61
	v_mul_f16_e32 v111, 0xb9fd, v51
	v_mul_f16_e32 v51, 0x2fb7, v51
	v_sub_f16_e32 v113, v113, v115
	v_mul_f16_e32 v115, 0x388b, v69
	v_add_f16_e32 v60, v118, v60
	v_mul_f16_e32 v118, 0x33a8, v71
	v_add_f16_e32 v64, v132, v64
	v_add_f16_e32 v61, v113, v61
	;; [unrolled: 1-line block ×3, first 2 shown]
	v_mul_f16_e32 v113, 0xb5ac, v74
	v_sub_f16_e32 v112, v112, v118
	v_mul_f16_e32 v117, 0x2fb7, v66
	v_mul_f16_e32 v135, 0x2fb7, v85
	v_add_f16_e32 v60, v115, v60
	v_mul_f16_e32 v115, 0x3770, v77
	v_add_f16_e32 v113, v113, v119
	v_add_f16_e32 v61, v112, v61
	v_mul_f16_e32 v119, 0xbbc4, v66
	v_add_f16_e32 v51, v51, v108
	v_sub_f16_e32 v114, v114, v115
	v_mul_f16_e32 v115, 0xb5ac, v66
	v_add_f16_e32 v60, v113, v60
	v_mul_f16_e32 v113, 0x3b15, v66
	v_mul_f16_e32 v66, 0x388b, v66
	v_add_f16_e32 v61, v114, v61
	v_mul_f16_e32 v114, 0xbb7b, v90
	v_add_f16_e32 v110, v7, v110
	v_add_f16_e32 v64, v7, v64
	v_add_f16_e32 v65, v138, v65
	v_mul_f16_e32 v125, 0xba95, v55
	v_mul_f16_e32 v116, 0xbb7b, v55
	;; [unrolled: 1-line block ×4, first 2 shown]
	v_sub_f16_e32 v114, v121, v114
	v_mul_f16_e32 v121, 0xb5ac, v69
	v_add_f16_e32 v120, v135, v120
	v_mul_f16_e32 v135, 0xb9fd, v69
	v_add_f16_e32 v51, v51, v110
	;; [unrolled: 2-line block ×3, first 2 shown]
	v_sub_f16_e32 v106, v106, v127
	v_mul_f16_e32 v127, 0x2fb7, v69
	v_mul_f16_e32 v69, 0xbbc4, v69
	v_add_f16_e32 v64, v65, v64
	v_add_f16_e32 v65, v119, v68
	;; [unrolled: 1-line block ×3, first 2 shown]
	v_add_f16_sdwa v44, v7, v44 dst_sel:DWORD dst_unused:UNUSED_PAD src0_sel:WORD_1 src1_sel:DWORD
	v_sub_f16_e32 v55, v103, v55
	v_mul_f16_e32 v103, 0xb9fd, v74
	v_add_f16_e32 v51, v66, v51
	v_add_f16_e32 v69, v69, v107
	v_mul_f16_e32 v107, 0x2fb7, v74
	v_add_f16_e32 v93, v136, v93
	v_mul_f16_e32 v136, 0x388b, v74
	;; [unrolled: 2-line block ×3, first 2 shown]
	v_mul_f16_e32 v74, 0x3b15, v74
	v_add_f16_e32 v64, v65, v64
	v_add_f16_e32 v62, v135, v62
	;; [unrolled: 1-line block ×4, first 2 shown]
	v_mul_f16_e32 v118, 0xbbf1, v67
	v_mul_f16_e32 v112, 0xb3a8, v67
	v_add_f16_e32 v122, v126, v122
	v_mul_f16_e32 v126, 0x3b7b, v67
	v_mul_f16_e32 v67, 0x3770, v67
	v_add_f16_sdwa v106, v7, v106 dst_sel:DWORD dst_unused:UNUSED_PAD src0_sel:WORD_1 src1_sel:DWORD
	v_add_f16_e32 v51, v69, v51
	v_add_f16_e32 v74, v74, v102
	v_sub_f16_e32 v48, v48, v131
	v_add_f16_e32 v44, v62, v64
	v_add_f16_e32 v31, v32, v31
	;; [unrolled: 1-line block ×4, first 2 shown]
	v_mul_f16_e32 v108, 0xbb7b, v71
	v_add_f16_e32 v61, v114, v61
	v_mul_f16_e32 v114, 0x394e, v71
	v_mul_f16_e32 v109, 0x3770, v71
	;; [unrolled: 1-line block ×3, first 2 shown]
	v_add_f16_e32 v55, v55, v106
	v_sub_f16_e32 v67, v101, v67
	v_add_f16_e32 v93, v7, v93
	v_add_f16_e32 v51, v74, v51
	v_sub_f16_e32 v74, v86, v133
	v_add_f16_e32 v79, v134, v79
	v_sub_f16_e32 v72, v72, v129
	v_add_f16_sdwa v48, v7, v48 dst_sel:DWORD dst_unused:UNUSED_PAD src0_sel:WORD_1 src1_sel:DWORD
	v_sub_f16_e32 v43, v49, v125
	v_add_f16_e32 v30, v31, v30
	v_add_f16_e32 v31, v32, v44
	;; [unrolled: 1-line block ×4, first 2 shown]
	v_mul_f16_e32 v66, 0xb94e, v77
	v_mul_f16_e32 v106, 0x3bf1, v77
	;; [unrolled: 1-line block ×4, first 2 shown]
	v_add_f16_e32 v55, v67, v55
	v_sub_f16_e32 v71, v100, v71
	v_add_f16_e32 v93, v94, v93
	v_add_f16_e32 v95, v113, v95
	v_add_f16_sdwa v74, v7, v74 dst_sel:DWORD dst_unused:UNUSED_PAD src0_sel:WORD_1 src1_sel:DWORD
	v_add_f16_e32 v79, v7, v79
	v_add_f16_sdwa v72, v7, v72 dst_sel:DWORD dst_unused:UNUSED_PAD src0_sel:WORD_1 src1_sel:DWORD
	v_add_f16_e32 v42, v43, v48
	v_add_f16_e32 v28, v30, v28
	v_sub_f16_e32 v30, v53, v118
	v_add_f16_e32 v7, v7, v32
	v_add_f16_e32 v32, v41, v40
	v_mul_f16_e32 v100, 0xb3a8, v90
	v_mul_f16_e32 v113, 0x3770, v90
	;; [unrolled: 1-line block ×3, first 2 shown]
	v_add_f16_e32 v55, v71, v55
	v_mul_f16_e32 v90, 0x3a95, v90
	v_sub_f16_e32 v77, v99, v77
	v_add_f16_e32 v93, v95, v93
	v_add_f16_e32 v95, v127, v96
	;; [unrolled: 1-line block ×5, first 2 shown]
	v_sub_f16_e32 v30, v56, v108
	v_add_f16_e32 v32, v32, v39
	v_add_f16_e32 v55, v77, v55
	v_sub_f16_e32 v77, v105, v90
	v_add_f16_e32 v86, v95, v93
	v_add_f16_e32 v90, v111, v97
	v_sub_f16_e32 v88, v88, v123
	v_add_f16_e32 v80, v128, v80
	v_sub_f16_e32 v73, v73, v116
	v_add_f16_e32 v7, v40, v7
	v_add_f16_e32 v25, v27, v25
	;; [unrolled: 1-line block ×8, first 2 shown]
	v_sub_f16_e32 v86, v89, v126
	v_add_f16_e32 v79, v80, v79
	v_add_f16_e32 v80, v115, v81
	;; [unrolled: 1-line block ×3, first 2 shown]
	v_sub_f16_e32 v73, v76, v112
	v_add_f16_e32 v24, v25, v24
	v_add_f16_e32 v7, v27, v7
	;; [unrolled: 1-line block ×5, first 2 shown]
	v_sub_f16_e32 v86, v87, v109
	v_add_f16_e32 v79, v80, v79
	v_add_f16_e32 v80, v110, v83
	;; [unrolled: 1-line block ×3, first 2 shown]
	v_sub_f16_e32 v73, v75, v114
	v_sub_f16_e32 v32, v57, v66
	v_add_f16_e32 v20, v24, v20
	v_add_f16_e32 v7, v25, v7
	;; [unrolled: 1-line block ×3, first 2 shown]
	v_mul_f16_e32 v67, 0xbbc4, v85
	v_mul_f16_e32 v94, 0x3b15, v85
	v_mul_f16_e32 v69, 0xb9fd, v85
	v_add_f16_e32 v74, v86, v74
	v_sub_f16_e32 v81, v91, v101
	v_add_f16_e32 v79, v80, v79
	v_add_f16_e32 v75, v136, v82
	;; [unrolled: 1-line block ×3, first 2 shown]
	v_sub_f16_e32 v73, v78, v106
	v_add_f16_e32 v28, v32, v28
	v_sub_f16_e32 v24, v59, v100
	v_add_f16_e32 v27, v103, v54
	v_add_f16_e32 v20, v20, v21
	;; [unrolled: 1-line block ×3, first 2 shown]
	v_mul_f16_e32 v71, 0x388b, v85
	v_mul_f16_e32 v85, 0xb5ac, v85
	v_add_f16_e32 v74, v81, v74
	v_sub_f16_e32 v76, v92, v102
	v_add_f16_e32 v75, v75, v79
	v_add_f16_e32 v68, v69, v84
	;; [unrolled: 1-line block ×3, first 2 shown]
	v_sub_f16_e32 v70, v70, v113
	v_add_f16_e32 v21, v94, v58
	v_add_f16_e32 v24, v24, v28
	;; [unrolled: 1-line block ×4, first 2 shown]
	v_mov_b32_e32 v23, 0x208
	v_mov_b32_e32 v27, 2
	v_add_f16_e32 v25, v25, v33
	v_add_f16_e32 v28, v67, v52
	v_add_f16_e32 v85, v85, v104
	v_add_f16_e32 v71, v71, v98
	v_add_f16_e32 v74, v76, v74
	v_add_f16_e32 v34, v70, v69
	v_add_f16_e32 v20, v20, v22
	v_mul_u32_u24_sdwa v4, v4, v23 dst_sel:DWORD dst_unused:UNUSED_PAD src0_sel:WORD_0 src1_sel:DWORD
	v_lshlrev_b32_sdwa v19, v27, v19 dst_sel:DWORD dst_unused:UNUSED_PAD src0_sel:DWORD src1_sel:BYTE_0
	v_add_f16_e32 v8, v25, v8
	v_add_f16_e32 v7, v28, v7
	;; [unrolled: 1-line block ×4, first 2 shown]
	v_add3_u32 v4, 0, v4, v19
	v_pack_b32_f16 v8, v20, v8
	v_pack_b32_f16 v7, v7, v24
	;; [unrolled: 1-line block ×4, first 2 shown]
	v_add_f16_e32 v21, v71, v77
	v_add_f16_e32 v22, v85, v51
	;; [unrolled: 1-line block ×3, first 2 shown]
	ds_write2_b32 v4, v8, v7 offset1:10
	ds_write2_b32 v4, v19, v20 offset0:20 offset1:30
	v_perm_b32 v20, v10, v9, 0x5040100
	v_pack_b32_f16 v7, v21, v55
	v_pack_b32_f16 v8, v22, v61
	;; [unrolled: 1-line block ×3, first 2 shown]
	v_perm_b32 v21, v29, v26, 0x5040100
	v_perm_b32 v22, v14, v18, 0x5040100
	;; [unrolled: 1-line block ×5, first 2 shown]
	ds_write2_b32 v4, v7, v8 offset0:40 offset1:50
	ds_write2_b32 v4, v19, v20 offset0:60 offset1:70
	;; [unrolled: 1-line block ×4, first 2 shown]
	ds_write_b32 v4, v25 offset:480
.LBB0_17:
	s_or_b32 exec_lo, exec_lo, s1
	s_waitcnt lgkmcnt(0)
	s_barrier
	buffer_gl0_inv
	ds_read_b32 v20, v0
	ds_read_b32 v27, v0 offset:1040
	ds_read_b32 v25, v0 offset:2080
	;; [unrolled: 1-line block ×6, first 2 shown]
	v_cmp_gt_u32_e64 s0, 0x4e, v3
                                        ; implicit-def: $vgpr19
                                        ; implicit-def: $vgpr4
	s_and_saveexec_b32 s1, s0
	s_cbranch_execz .LBB0_19
; %bb.18:
	ds_read_b32 v9, v0 offset:728
	ds_read_b32 v11, v0 offset:3848
	;; [unrolled: 1-line block ×6, first 2 shown]
	ds_read_u16 v14, v0 offset:2810
	ds_read_b32 v18, v0 offset:2808
	s_waitcnt lgkmcnt(7)
	v_lshrrev_b32_e32 v10, 16, v9
	s_waitcnt lgkmcnt(6)
	v_lshrrev_b32_e32 v17, 16, v11
	;; [unrolled: 2-line block ×6, first 2 shown]
.LBB0_19:
	s_or_b32 exec_lo, exec_lo, s1
	v_add_nc_u32_e32 v7, 0xffffff7e, v3
	v_cmp_gt_u32_e64 s1, 0x82, v3
	v_mov_b32_e32 v8, 0
	s_waitcnt lgkmcnt(5)
	v_lshrrev_b32_e32 v36, 16, v27
	s_waitcnt lgkmcnt(4)
	v_lshrrev_b32_e32 v37, 16, v25
	;; [unrolled: 2-line block ×3, first 2 shown]
	v_cndmask_b32_e64 v28, v7, v3, s1
	s_waitcnt lgkmcnt(1)
	v_lshrrev_b32_e32 v39, 16, v21
	s_waitcnt lgkmcnt(0)
	v_lshrrev_b32_e32 v40, 16, v24
	v_mul_i32_i24_e32 v7, 6, v28
	v_lshlrev_b32_e32 v28, 2, v28
	v_lshlrev_b64 v[30:31], 2, v[7:8]
	v_add_co_u32 v34, s1, s12, v30
	v_add_co_ci_u32_e64 v35, s1, s13, v31, s1
	v_cmp_lt_u32_e64 s1, 0x81, v3
	s_clause 0x1
	global_load_dwordx4 v[30:33], v[34:35], off offset:480
	global_load_dwordx2 v[34:35], v[34:35], off offset:496
	s_waitcnt vmcnt(0)
	v_cndmask_b32_e64 v7, 0, 0xe38, s1
	s_barrier
	buffer_gl0_inv
	v_add3_u32 v7, 0, v7, v28
	v_lshrrev_b32_e32 v28, 16, v23
	v_add_nc_u32_e32 v41, 0x400, v7
	v_add_nc_u32_e32 v42, 0x800, v7
	v_mul_f16_sdwa v43, v30, v36 dst_sel:DWORD dst_unused:UNUSED_PAD src0_sel:WORD_1 src1_sel:DWORD
	v_mul_f16_sdwa v44, v30, v27 dst_sel:DWORD dst_unused:UNUSED_PAD src0_sel:WORD_1 src1_sel:DWORD
	;; [unrolled: 1-line block ×12, first 2 shown]
	v_fmac_f16_e32 v43, v30, v27
	v_fma_f16 v27, v30, v36, -v44
	v_fmac_f16_e32 v45, v31, v25
	v_fma_f16 v25, v31, v37, -v46
	v_fmac_f16_e32 v49, v33, v22
	v_fmac_f16_e32 v53, v35, v24
	v_fma_f16 v22, v35, v40, -v54
	v_fmac_f16_e32 v51, v34, v21
	v_fma_f16 v21, v34, v39, -v52
	;; [unrolled: 2-line block ×3, first 2 shown]
	v_fma_f16 v24, v33, v38, -v50
	v_add_f16_e32 v28, v43, v53
	v_add_f16_e32 v30, v27, v22
	v_sub_f16_e32 v22, v27, v22
	v_add_f16_e32 v27, v45, v51
	v_add_f16_e32 v32, v25, v21
	v_sub_f16_e32 v33, v45, v51
	v_sub_f16_e32 v21, v25, v21
	v_add_f16_e32 v25, v47, v49
	v_add_f16_e32 v34, v23, v24
	v_sub_f16_e32 v35, v49, v47
	;; [unrolled: 4-line block ×3, first 2 shown]
	v_sub_f16_e32 v37, v27, v28
	v_sub_f16_e32 v38, v32, v30
	;; [unrolled: 1-line block ×6, first 2 shown]
	v_add_f16_e32 v39, v35, v33
	v_add_f16_e32 v40, v23, v21
	v_sub_f16_e32 v43, v35, v33
	v_sub_f16_e32 v44, v23, v21
	v_sub_f16_e32 v21, v21, v22
	v_add_f16_e32 v24, v25, v24
	v_add_f16_e32 v25, v34, v36
	v_sub_f16_e32 v33, v33, v31
	v_sub_f16_e32 v35, v31, v35
	;; [unrolled: 1-line block ×3, first 2 shown]
	v_add_f16_e32 v31, v39, v31
	v_add_f16_e32 v22, v40, v22
	v_mul_f16_e32 v28, 0x3a52, v28
	v_mul_f16_e32 v30, 0x3a52, v30
	v_mul_f16_e32 v34, 0x2b26, v27
	v_mul_f16_e32 v36, 0x2b26, v32
	v_mul_f16_e32 v39, 0x3846, v43
	v_mul_f16_e32 v40, 0x3846, v44
	v_mul_f16_e32 v44, 0xbb00, v21
	v_add_f16_e32 v45, v24, v20
	v_add_f16_sdwa v20, v25, v20 dst_sel:DWORD dst_unused:UNUSED_PAD src0_sel:DWORD src1_sel:WORD_1
	v_mul_f16_e32 v43, 0xbb00, v33
	v_fmamk_f16 v27, v27, 0x2b26, v28
	v_fmamk_f16 v32, v32, 0x2b26, v30
	v_fma_f16 v34, v37, 0x39e0, -v34
	v_fma_f16 v36, v38, 0x39e0, -v36
	;; [unrolled: 1-line block ×4, first 2 shown]
	v_fmamk_f16 v37, v35, 0xb574, v39
	v_fmamk_f16 v38, v23, 0xb574, v40
	v_fma_f16 v21, v21, 0xbb00, -v40
	v_fma_f16 v23, v23, 0x3574, -v44
	v_fmamk_f16 v24, v24, 0xbcab, v45
	v_fmamk_f16 v25, v25, 0xbcab, v20
	v_fma_f16 v33, v33, 0xbb00, -v39
	v_fma_f16 v35, v35, 0x3574, -v43
	v_fmac_f16_e32 v37, 0xb70e, v31
	v_fmac_f16_e32 v38, 0xb70e, v22
	;; [unrolled: 1-line block ×4, first 2 shown]
	v_add_f16_e32 v22, v27, v24
	v_add_f16_e32 v27, v32, v25
	v_fmac_f16_e32 v33, 0xb70e, v31
	v_fmac_f16_e32 v35, 0xb70e, v31
	v_add_f16_e32 v31, v34, v24
	v_add_f16_e32 v24, v28, v24
	;; [unrolled: 1-line block ×5, first 2 shown]
	v_sub_f16_e32 v32, v27, v37
	v_add_f16_e32 v34, v23, v24
	v_sub_f16_e32 v36, v28, v35
	v_sub_f16_e32 v39, v31, v21
	v_add_f16_e32 v40, v33, v25
	v_add_f16_e32 v21, v21, v31
	v_sub_f16_e32 v25, v25, v33
	v_sub_f16_e32 v23, v24, v23
	v_add_f16_e32 v24, v35, v28
	v_sub_f16_e32 v22, v22, v38
	v_add_f16_e32 v27, v37, v27
	v_pack_b32_f16 v20, v45, v20
	v_pack_b32_f16 v28, v30, v32
	;; [unrolled: 1-line block ×7, first 2 shown]
	ds_write2_b32 v7, v20, v28 offset1:130
	ds_write2_b32 v41, v30, v31 offset0:4 offset1:134
	ds_write2_b32 v42, v21, v23 offset0:8 offset1:138
	ds_write_b32 v7, v22 offset:3120
	s_and_saveexec_b32 s1, s0
	s_cbranch_execz .LBB0_21
; %bb.20:
	v_add_nc_u32_e32 v7, 0xb6, v3
	v_mov_b32_e32 v20, 0xfc1
	v_mul_u32_u24_sdwa v20, v7, v20 dst_sel:DWORD dst_unused:UNUSED_PAD src0_sel:WORD_0 src1_sel:DWORD
	v_lshrrev_b32_e32 v20, 19, v20
	v_mul_lo_u16 v20, 0x82, v20
	v_sub_nc_u16 v7, v7, v20
	v_and_b32_e32 v7, 0xffff, v7
	v_mul_u32_u24_e32 v20, 6, v7
	v_lshl_add_u32 v7, v7, 2, 0
	v_lshlrev_b32_e32 v24, 2, v20
	v_add_nc_u32_e32 v27, 0xe00, v7
	v_add_nc_u32_e32 v28, 0x1200, v7
	;; [unrolled: 1-line block ×3, first 2 shown]
	s_clause 0x1
	global_load_dwordx4 v[20:23], v24, s[12:13] offset:480
	global_load_dwordx2 v[24:25], v24, s[12:13] offset:496
	s_waitcnt vmcnt(1)
	v_mul_f16_sdwa v31, v29, v20 dst_sel:DWORD dst_unused:UNUSED_PAD src0_sel:DWORD src1_sel:WORD_1
	s_waitcnt vmcnt(0)
	v_mul_f16_sdwa v32, v19, v25 dst_sel:DWORD dst_unused:UNUSED_PAD src0_sel:DWORD src1_sel:WORD_1
	v_mul_f16_sdwa v34, v17, v22 dst_sel:DWORD dst_unused:UNUSED_PAD src0_sel:DWORD src1_sel:WORD_1
	;; [unrolled: 1-line block ×11, first 2 shown]
	v_fmac_f16_e32 v31, v26, v20
	v_fmac_f16_e32 v32, v4, v25
	;; [unrolled: 1-line block ×5, first 2 shown]
	v_fma_f16 v4, v19, v25, -v37
	v_fma_f16 v11, v29, v20, -v38
	;; [unrolled: 1-line block ×4, first 2 shown]
	v_fmac_f16_e32 v33, v13, v23
	v_fma_f16 v12, v17, v22, -v39
	v_fma_f16 v13, v16, v23, -v40
	v_add_f16_e32 v19, v11, v4
	v_add_f16_e32 v21, v14, v15
	;; [unrolled: 1-line block ×4, first 2 shown]
	v_sub_f16_e32 v16, v31, v32
	v_sub_f16_e32 v17, v33, v34
	v_sub_f16_e32 v18, v35, v36
	v_add_f16_e32 v20, v12, v13
	v_add_f16_e32 v23, v34, v33
	v_sub_f16_e32 v4, v11, v4
	v_sub_f16_e32 v11, v13, v12
	;; [unrolled: 1-line block ×3, first 2 shown]
	v_add_f16_e32 v26, v21, v19
	v_add_f16_e32 v32, v24, v22
	v_sub_f16_e32 v13, v16, v17
	v_sub_f16_e32 v14, v17, v18
	v_add_f16_e32 v15, v17, v18
	v_sub_f16_e32 v17, v19, v20
	v_sub_f16_e32 v25, v20, v21
	;; [unrolled: 1-line block ×6, first 2 shown]
	v_add_f16_e32 v11, v11, v12
	v_sub_f16_e32 v18, v18, v16
	v_sub_f16_e32 v12, v12, v4
	v_add_f16_e32 v20, v20, v26
	v_add_f16_e32 v23, v23, v32
	v_sub_f16_e32 v19, v21, v19
	v_sub_f16_e32 v21, v24, v22
	v_mul_f16_e32 v14, 0x3846, v14
	v_add_f16_e32 v15, v15, v16
	v_mul_f16_e32 v16, 0x3a52, v17
	v_mul_f16_e32 v17, 0x2b26, v25
	v_mul_f16_e32 v22, 0x3a52, v29
	v_mul_f16_e32 v26, 0x3846, v34
	v_add_f16_e32 v4, v11, v4
	v_mul_f16_e32 v11, 0xbb00, v18
	v_mul_f16_e32 v29, 0xbb00, v12
	v_add_f16_e32 v10, v10, v20
	v_add_f16_e32 v9, v9, v23
	v_mul_f16_e32 v24, 0x2b26, v31
	v_fmamk_f16 v32, v13, 0xb574, v14
	v_fmamk_f16 v25, v25, 0x2b26, v16
	;; [unrolled: 1-line block ×4, first 2 shown]
	v_fma_f16 v11, v13, 0x3574, -v11
	v_fma_f16 v13, v19, 0xb9e0, -v16
	;; [unrolled: 1-line block ×6, first 2 shown]
	v_fmamk_f16 v19, v20, 0xbcab, v10
	v_fmamk_f16 v20, v23, 0xbcab, v9
	v_fma_f16 v14, v18, 0xbb00, -v14
	v_fma_f16 v18, v21, 0x39e0, -v24
	v_fmac_f16_e32 v32, 0xb70e, v15
	v_fmac_f16_e32 v34, 0xb70e, v4
	;; [unrolled: 1-line block ×4, first 2 shown]
	v_pack_b32_f16 v4, v9, v10
	v_add_f16_e32 v9, v25, v19
	v_add_f16_e32 v10, v31, v20
	v_fmac_f16_e32 v11, 0xb70e, v15
	v_fmac_f16_e32 v14, 0xb70e, v15
	v_add_f16_e32 v13, v13, v19
	v_add_f16_e32 v15, v16, v20
	;; [unrolled: 1-line block ×5, first 2 shown]
	v_sub_f16_e32 v19, v10, v34
	v_sub_f16_e32 v9, v9, v32
	v_add_f16_e32 v10, v34, v10
	v_add_f16_e32 v20, v11, v13
	v_sub_f16_e32 v21, v16, v14
	v_add_f16_e32 v14, v14, v16
	v_sub_f16_e32 v11, v13, v11
	;; [unrolled: 2-line block ×4, first 2 shown]
	v_pack_b32_f16 v9, v10, v9
	v_pack_b32_f16 v10, v13, v11
	;; [unrolled: 1-line block ×6, first 2 shown]
	ds_write2_b32 v27, v4, v9 offset0:14 offset1:144
	ds_write2_b32 v28, v10, v11 offset0:18 offset1:148
	;; [unrolled: 1-line block ×3, first 2 shown]
	ds_write_b32 v7, v14 offset:6760
.LBB0_21:
	s_or_b32 exec_lo, exec_lo, s1
	v_mov_b32_e32 v4, v8
	s_waitcnt lgkmcnt(0)
	s_barrier
	buffer_gl0_inv
	v_add_nc_u32_e32 v23, 0xb00, v0
	v_lshlrev_b64 v[7:8], 2, v[3:4]
	v_add_nc_u32_e32 v24, 0x1000, v0
	v_add_nc_u32_e32 v25, 0x1600, v0
	;; [unrolled: 1-line block ×3, first 2 shown]
	s_add_u32 s1, s12, 0x1c48
	s_addc_u32 s4, s13, 0
	v_add_co_u32 v4, s0, s12, v7
	v_add_co_ci_u32_e64 v14, s0, s13, v8, s0
	s_mov_b32 s5, exec_lo
	v_add_co_u32 v9, s0, 0x800, v4
	v_add_co_ci_u32_e64 v10, s0, 0, v14, s0
	v_add_co_u32 v11, s0, 0x1000, v4
	v_add_co_ci_u32_e64 v12, s0, 0, v14, s0
	;; [unrolled: 2-line block ×3, first 2 shown]
	s_clause 0x4
	global_load_dword v4, v[9:10], off offset:1552
	global_load_dword v19, v[11:12], off offset:232
	;; [unrolled: 1-line block ×5, first 2 shown]
	ds_read2_b32 v[9:10], v23 offset0:24 offset1:206
	ds_read2_b32 v[11:12], v24 offset0:68 offset1:250
	;; [unrolled: 1-line block ×3, first 2 shown]
	ds_read2_b32 v[15:16], v0 offset1:182
	ds_read2_b32 v[17:18], v26 offset0:44 offset1:226
	s_waitcnt vmcnt(0) lgkmcnt(0)
	s_barrier
	buffer_gl0_inv
	v_pk_mul_f16 v27, v4, v10 op_sel:[0,1]
	v_pk_mul_f16 v28, v19, v11 op_sel:[0,1]
	;; [unrolled: 1-line block ×5, first 2 shown]
	v_pk_fma_f16 v32, v4, v10, v27 op_sel:[0,0,1] op_sel_hi:[1,1,0]
	v_pk_fma_f16 v4, v4, v10, v27 op_sel:[0,0,1] op_sel_hi:[1,0,0] neg_lo:[1,0,0] neg_hi:[1,0,0]
	v_pk_fma_f16 v10, v19, v11, v28 op_sel:[0,0,1] op_sel_hi:[1,1,0]
	v_pk_fma_f16 v11, v19, v11, v28 op_sel:[0,0,1] op_sel_hi:[1,0,0] neg_lo:[1,0,0] neg_hi:[1,0,0]
	;; [unrolled: 2-line block ×5, first 2 shown]
	v_bfi_b32 v4, 0xffff, v32, v4
	v_bfi_b32 v10, 0xffff, v10, v11
	;; [unrolled: 1-line block ×5, first 2 shown]
	v_pk_add_f16 v4, v15, v4 neg_lo:[0,1] neg_hi:[0,1]
	v_pk_add_f16 v10, v16, v10 neg_lo:[0,1] neg_hi:[0,1]
	;; [unrolled: 1-line block ×5, first 2 shown]
	v_pk_fma_f16 v14, v15, 2.0, v4 op_sel_hi:[1,0,1] neg_lo:[0,0,1] neg_hi:[0,0,1]
	v_pk_fma_f16 v15, v16, 2.0, v10 op_sel_hi:[1,0,1] neg_lo:[0,0,1] neg_hi:[0,0,1]
	;; [unrolled: 1-line block ×5, first 2 shown]
	ds_write2_b32 v24, v10, v11 offset0:68 offset1:250
	ds_write2_b32 v25, v12, v13 offset0:48 offset1:230
	ds_write2_b32 v0, v14, v15 offset1:182
	ds_write2_b32 v26, v16, v17 offset0:44 offset1:226
	ds_write2_b32 v23, v9, v4 offset0:24 offset1:206
	s_waitcnt lgkmcnt(0)
	s_barrier
	buffer_gl0_inv
	ds_read_b32 v12, v0
	v_lshlrev_b32_e32 v4, 2, v3
                                        ; implicit-def: $vgpr11
                                        ; implicit-def: $vgpr9
                                        ; implicit-def: $vgpr10
	v_sub_nc_u32_e32 v4, 0, v4
	v_cmpx_ne_u32_e32 0, v3
	s_xor_b32 s5, exec_lo, s5
	s_cbranch_execz .LBB0_23
; %bb.22:
	v_add_co_u32 v9, s0, s1, v7
	v_add_co_ci_u32_e64 v10, s0, s4, v8, s0
	global_load_dword v9, v[9:10], off
	ds_read_b32 v10, v4 offset:7280
	s_waitcnt lgkmcnt(0)
	v_pk_add_f16 v11, v12, v10 neg_lo:[0,1] neg_hi:[0,1]
	v_pk_add_f16 v10, v10, v12
	v_bfi_b32 v12, 0xffff, v11, v10
	v_bfi_b32 v10, 0xffff, v10, v11
	v_pk_mul_f16 v12, v12, 0.5 op_sel_hi:[1,0]
	v_pk_mul_f16 v13, v10, 0.5 op_sel_hi:[1,0]
	s_waitcnt vmcnt(0)
	v_pk_mul_f16 v11, v9, v12 op_sel:[1,0]
	v_pk_mul_f16 v12, v9, v12 op_sel_hi:[0,1]
	v_pk_fma_f16 v9, v10, 0.5, v11 op_sel_hi:[1,0,1]
	v_sub_f16_e32 v10, v13, v11
	v_sub_f16_sdwa v13, v11, v13 dst_sel:DWORD dst_unused:UNUSED_PAD src0_sel:WORD_1 src1_sel:WORD_1
	v_pk_add_f16 v14, v9, v12 op_sel:[0,1] op_sel_hi:[1,0]
	v_pk_add_f16 v15, v9, v12 op_sel:[0,1] op_sel_hi:[1,0] neg_lo:[0,1] neg_hi:[0,1]
	v_sub_f16_sdwa v9, v10, v12 dst_sel:DWORD dst_unused:UNUSED_PAD src0_sel:DWORD src1_sel:WORD_1
	v_sub_f16_e32 v10, v13, v12
                                        ; implicit-def: $vgpr12
	v_bfi_b32 v11, 0xffff, v14, v15
.LBB0_23:
	s_andn2_saveexec_b32 s0, s5
	s_cbranch_execz .LBB0_25
; %bb.24:
	v_mov_b32_e32 v10, 0
	s_waitcnt lgkmcnt(0)
	v_alignbit_b32 v9, s0, v12, 16
	ds_read_u16 v11, v10 offset:3642
	v_pk_add_f16 v13, v9, v12
	v_sub_f16_sdwa v9, v12, v12 dst_sel:DWORD dst_unused:UNUSED_PAD src0_sel:DWORD src1_sel:WORD_1
	s_waitcnt lgkmcnt(0)
	v_xor_b32_e32 v12, 0x8000, v11
	v_pack_b32_f16 v11, v13, 0
	ds_write_b16 v10, v12 offset:3642
.LBB0_25:
	s_or_b32 exec_lo, exec_lo, s0
	v_add_co_u32 v7, s0, s1, v7
	v_add_co_ci_u32_e64 v8, s0, s4, v8, s0
	s_waitcnt lgkmcnt(0)
	s_clause 0x1
	global_load_dword v12, v[7:8], off offset:728
	global_load_dword v13, v[7:8], off offset:1456
	v_add_co_u32 v7, s0, 0x800, v7
	v_add_co_ci_u32_e64 v8, s0, 0, v8, s0
	s_clause 0x1
	global_load_dword v14, v[7:8], off offset:136
	global_load_dword v7, v[7:8], off offset:864
	ds_write_b16 v4, v10 offset:7282
	ds_write_b32 v0, v11
	ds_write_b16 v4, v9 offset:7280
	ds_read_b32 v8, v0 offset:728
	ds_read_b32 v9, v4 offset:6552
	s_waitcnt lgkmcnt(0)
	v_pk_add_f16 v10, v8, v9 neg_lo:[0,1] neg_hi:[0,1]
	v_pk_add_f16 v8, v8, v9
	v_bfi_b32 v9, 0xffff, v10, v8
	v_bfi_b32 v8, 0xffff, v8, v10
	v_pk_mul_f16 v9, v9, 0.5 op_sel_hi:[1,0]
	v_pk_mul_f16 v11, v8, 0.5 op_sel_hi:[1,0]
	s_waitcnt vmcnt(3)
	v_pk_mul_f16 v10, v12, v9 op_sel:[1,0]
	v_pk_mul_f16 v9, v12, v9 op_sel_hi:[0,1]
	v_pk_fma_f16 v8, v8, 0.5, v10 op_sel_hi:[1,0,1]
	v_sub_f16_sdwa v12, v10, v11 dst_sel:DWORD dst_unused:UNUSED_PAD src0_sel:WORD_1 src1_sel:WORD_1
	v_sub_f16_e32 v10, v11, v10
	v_pk_add_f16 v15, v8, v9 op_sel:[0,1] op_sel_hi:[1,0]
	v_pk_add_f16 v8, v8, v9 op_sel:[0,1] op_sel_hi:[1,0] neg_lo:[0,1] neg_hi:[0,1]
	v_sub_f16_e32 v11, v12, v9
	v_sub_f16_sdwa v9, v10, v9 dst_sel:DWORD dst_unused:UNUSED_PAD src0_sel:DWORD src1_sel:WORD_1
	v_bfi_b32 v8, 0xffff, v15, v8
	ds_write_b16 v4, v11 offset:6554
	ds_write_b32 v0, v8 offset:728
	ds_write_b16 v4, v9 offset:6552
	ds_read_b32 v8, v0 offset:1456
	ds_read_b32 v9, v4 offset:5824
	s_waitcnt lgkmcnt(0)
	v_pk_add_f16 v10, v8, v9 neg_lo:[0,1] neg_hi:[0,1]
	v_pk_add_f16 v8, v8, v9
	v_bfi_b32 v9, 0xffff, v10, v8
	v_bfi_b32 v8, 0xffff, v8, v10
	v_pk_mul_f16 v9, v9, 0.5 op_sel_hi:[1,0]
	v_pk_mul_f16 v11, v8, 0.5 op_sel_hi:[1,0]
	s_waitcnt vmcnt(2)
	v_pk_mul_f16 v10, v13, v9 op_sel:[1,0]
	v_pk_mul_f16 v9, v13, v9 op_sel_hi:[0,1]
	v_pk_fma_f16 v8, v8, 0.5, v10 op_sel_hi:[1,0,1]
	v_sub_f16_sdwa v12, v10, v11 dst_sel:DWORD dst_unused:UNUSED_PAD src0_sel:WORD_1 src1_sel:WORD_1
	v_sub_f16_e32 v10, v11, v10
	v_pk_add_f16 v13, v8, v9 op_sel:[0,1] op_sel_hi:[1,0]
	v_pk_add_f16 v8, v8, v9 op_sel:[0,1] op_sel_hi:[1,0] neg_lo:[0,1] neg_hi:[0,1]
	v_sub_f16_e32 v11, v12, v9
	v_sub_f16_sdwa v9, v10, v9 dst_sel:DWORD dst_unused:UNUSED_PAD src0_sel:DWORD src1_sel:WORD_1
	v_bfi_b32 v8, 0xffff, v13, v8
	ds_write_b16 v4, v11 offset:5826
	ds_write_b32 v0, v8 offset:1456
	ds_write_b16 v4, v9 offset:5824
	ds_read_b32 v8, v0 offset:2184
	ds_read_b32 v9, v4 offset:5096
	s_waitcnt lgkmcnt(0)
	v_pk_add_f16 v10, v8, v9 neg_lo:[0,1] neg_hi:[0,1]
	v_pk_add_f16 v8, v8, v9
	v_bfi_b32 v9, 0xffff, v10, v8
	v_bfi_b32 v8, 0xffff, v8, v10
	v_pk_mul_f16 v9, v9, 0.5 op_sel_hi:[1,0]
	v_pk_mul_f16 v8, v8, 0.5 op_sel_hi:[1,0]
	s_waitcnt vmcnt(1)
	v_pk_mul_f16 v11, v14, v9 op_sel_hi:[0,1]
	v_pk_fma_f16 v10, v14, v9, v8 op_sel:[1,0,0]
	v_pk_fma_f16 v12, v14, v9, v8 op_sel:[1,0,0] neg_lo:[1,0,0] neg_hi:[1,0,0]
	v_pk_fma_f16 v8, v14, v9, v8 op_sel:[1,0,0] neg_lo:[0,0,1] neg_hi:[0,0,1]
	v_pk_add_f16 v9, v10, v11 op_sel:[0,1] op_sel_hi:[1,0]
	v_pk_add_f16 v10, v10, v11 op_sel:[0,1] op_sel_hi:[1,0] neg_lo:[0,1] neg_hi:[0,1]
	v_pk_add_f16 v12, v12, v11 op_sel:[0,1] op_sel_hi:[1,0] neg_lo:[0,1] neg_hi:[0,1]
	;; [unrolled: 1-line block ×3, first 2 shown]
	v_bfi_b32 v9, 0xffff, v9, v10
	v_bfi_b32 v8, 0xffff, v12, v8
	ds_write_b32 v0, v9 offset:2184
	ds_write_b32 v4, v8 offset:5096
	ds_read_b32 v8, v0 offset:2912
	ds_read_b32 v9, v4 offset:4368
	s_waitcnt lgkmcnt(0)
	v_pk_add_f16 v10, v8, v9 neg_lo:[0,1] neg_hi:[0,1]
	v_pk_add_f16 v8, v8, v9
	v_bfi_b32 v9, 0xffff, v10, v8
	v_bfi_b32 v8, 0xffff, v8, v10
	v_pk_mul_f16 v9, v9, 0.5 op_sel_hi:[1,0]
	v_pk_mul_f16 v8, v8, 0.5 op_sel_hi:[1,0]
	s_waitcnt vmcnt(0)
	v_pk_mul_f16 v11, v7, v9 op_sel_hi:[0,1]
	v_pk_fma_f16 v10, v7, v9, v8 op_sel:[1,0,0]
	v_pk_fma_f16 v12, v7, v9, v8 op_sel:[1,0,0] neg_lo:[1,0,0] neg_hi:[1,0,0]
	v_pk_fma_f16 v7, v7, v9, v8 op_sel:[1,0,0] neg_lo:[0,0,1] neg_hi:[0,0,1]
	v_pk_add_f16 v8, v10, v11 op_sel:[0,1] op_sel_hi:[1,0]
	v_pk_add_f16 v9, v10, v11 op_sel:[0,1] op_sel_hi:[1,0] neg_lo:[0,1] neg_hi:[0,1]
	v_pk_add_f16 v10, v12, v11 op_sel:[0,1] op_sel_hi:[1,0] neg_lo:[0,1] neg_hi:[0,1]
	;; [unrolled: 1-line block ×3, first 2 shown]
	v_bfi_b32 v8, 0xffff, v8, v9
	v_bfi_b32 v7, 0xffff, v10, v7
	ds_write_b32 v0, v8 offset:2912
	ds_write_b32 v4, v7 offset:4368
	s_waitcnt lgkmcnt(0)
	s_barrier
	buffer_gl0_inv
	s_and_saveexec_b32 s0, vcc_lo
	s_cbranch_execz .LBB0_28
; %bb.26:
	v_mul_lo_u32 v0, s3, v5
	v_mul_lo_u32 v7, s2, v6
	v_mad_u64_u32 v[5:6], null, s2, v5, 0
	v_lshl_add_u32 v17, v3, 2, 0
	v_mov_b32_e32 v4, 0
	v_add_nc_u32_e32 v9, 0x16c, v3
	v_add_nc_u32_e32 v15, 0x2d8, v3
	ds_read2_b32 v[11:12], v17 offset1:182
	v_add3_u32 v6, v6, v7, v0
	v_lshlrev_b64 v[0:1], 2, v[1:2]
	v_add_nc_u32_e32 v7, 0xb6, v3
	v_mov_b32_e32 v8, v4
	v_lshlrev_b64 v[13:14], 2, v[3:4]
	v_lshlrev_b64 v[5:6], 2, v[5:6]
	v_mov_b32_e32 v10, v4
	v_mov_b32_e32 v16, v4
	v_lshlrev_b64 v[7:8], 2, v[7:8]
	v_add_co_u32 v2, vcc_lo, s10, v5
	v_add_co_ci_u32_e32 v5, vcc_lo, s11, v6, vcc_lo
	v_add_nc_u32_e32 v6, 0x500, v17
	v_add_co_u32 v0, vcc_lo, v2, v0
	v_add_co_ci_u32_e32 v1, vcc_lo, v5, v1, vcc_lo
	ds_read2_b32 v[5:6], v6 offset0:44 offset1:226
	v_add_co_u32 v13, vcc_lo, v0, v13
	v_lshlrev_b64 v[9:10], 2, v[9:10]
	v_add_co_ci_u32_e32 v14, vcc_lo, v1, v14, vcc_lo
	v_add_co_u32 v7, vcc_lo, v0, v7
	v_add_co_ci_u32_e32 v8, vcc_lo, v1, v8, vcc_lo
	v_add_co_u32 v9, vcc_lo, v0, v9
	v_add_co_ci_u32_e32 v10, vcc_lo, v1, v10, vcc_lo
	v_add_nc_u32_e32 v2, 0xb00, v17
	s_waitcnt lgkmcnt(1)
	global_store_dword v[13:14], v11, off
	v_add_nc_u32_e32 v13, 0x222, v3
	v_mov_b32_e32 v14, v4
	global_store_dword v[7:8], v12, off
	s_waitcnt lgkmcnt(0)
	global_store_dword v[9:10], v5, off
	ds_read2_b32 v[9:10], v2 offset0:24 offset1:206
	v_lshlrev_b64 v[11:12], 2, v[15:16]
	v_lshlrev_b64 v[7:8], 2, v[13:14]
	v_add_nc_u32_e32 v13, 0x38e, v3
	v_add_nc_u32_e32 v15, 0x444, v3
	;; [unrolled: 1-line block ×3, first 2 shown]
	v_add_co_u32 v7, vcc_lo, v0, v7
	v_lshlrev_b64 v[13:14], 2, v[13:14]
	v_add_co_ci_u32_e32 v8, vcc_lo, v1, v8, vcc_lo
	v_add_co_u32 v11, vcc_lo, v0, v11
	v_add_co_ci_u32_e32 v12, vcc_lo, v1, v12, vcc_lo
	v_add_co_u32 v13, vcc_lo, v0, v13
	v_add_co_ci_u32_e32 v14, vcc_lo, v1, v14, vcc_lo
	global_store_dword v[7:8], v6, off
	s_waitcnt lgkmcnt(0)
	global_store_dword v[11:12], v9, off
	global_store_dword v[13:14], v10, off
	v_add_nc_u32_e32 v9, 0x4fa, v3
	v_mov_b32_e32 v10, v4
	ds_read2_b32 v[5:6], v2 offset0:68 offset1:250
	v_lshlrev_b64 v[7:8], 2, v[15:16]
	v_add_nc_u32_e32 v2, 0x1600, v17
	v_add_nc_u32_e32 v11, 0x5b0, v3
	v_mov_b32_e32 v12, v4
	v_lshlrev_b64 v[9:10], 2, v[9:10]
	v_add_nc_u32_e32 v15, 0x666, v3
	ds_read2_b32 v[13:14], v2 offset0:48 offset1:230
	v_add_co_u32 v7, vcc_lo, v0, v7
	v_lshlrev_b64 v[11:12], 2, v[11:12]
	v_add_co_ci_u32_e32 v8, vcc_lo, v1, v8, vcc_lo
	v_add_co_u32 v9, vcc_lo, v0, v9
	v_lshlrev_b64 v[15:16], 2, v[15:16]
	v_add_co_ci_u32_e32 v10, vcc_lo, v1, v10, vcc_lo
	v_add_co_u32 v11, vcc_lo, v0, v11
	v_add_co_ci_u32_e32 v12, vcc_lo, v1, v12, vcc_lo
	v_add_co_u32 v15, vcc_lo, v0, v15
	v_add_co_ci_u32_e32 v16, vcc_lo, v1, v16, vcc_lo
	v_cmp_eq_u32_e32 vcc_lo, 0xb5, v3
	s_waitcnt lgkmcnt(1)
	global_store_dword v[7:8], v5, off
	global_store_dword v[9:10], v6, off
	s_waitcnt lgkmcnt(0)
	global_store_dword v[11:12], v13, off
	global_store_dword v[15:16], v14, off
	s_and_b32 exec_lo, exec_lo, vcc_lo
	s_cbranch_execz .LBB0_28
; %bb.27:
	ds_read_b32 v2, v4 offset:7280
	v_add_co_u32 v0, vcc_lo, 0x1800, v0
	v_add_co_ci_u32_e32 v1, vcc_lo, 0, v1, vcc_lo
	s_waitcnt lgkmcnt(0)
	global_store_dword v[0:1], v2, off offset:1136
.LBB0_28:
	s_endpgm
	.section	.rodata,"a",@progbits
	.p2align	6, 0x0
	.amdhsa_kernel fft_rtc_back_len1820_factors_10_13_7_2_wgs_182_tpt_182_halfLds_half_op_CI_CI_unitstride_sbrr_R2C_dirReg
		.amdhsa_group_segment_fixed_size 0
		.amdhsa_private_segment_fixed_size 0
		.amdhsa_kernarg_size 104
		.amdhsa_user_sgpr_count 6
		.amdhsa_user_sgpr_private_segment_buffer 1
		.amdhsa_user_sgpr_dispatch_ptr 0
		.amdhsa_user_sgpr_queue_ptr 0
		.amdhsa_user_sgpr_kernarg_segment_ptr 1
		.amdhsa_user_sgpr_dispatch_id 0
		.amdhsa_user_sgpr_flat_scratch_init 0
		.amdhsa_user_sgpr_private_segment_size 0
		.amdhsa_wavefront_size32 1
		.amdhsa_uses_dynamic_stack 0
		.amdhsa_system_sgpr_private_segment_wavefront_offset 0
		.amdhsa_system_sgpr_workgroup_id_x 1
		.amdhsa_system_sgpr_workgroup_id_y 0
		.amdhsa_system_sgpr_workgroup_id_z 0
		.amdhsa_system_sgpr_workgroup_info 0
		.amdhsa_system_vgpr_workitem_id 0
		.amdhsa_next_free_vgpr 149
		.amdhsa_next_free_sgpr 27
		.amdhsa_reserve_vcc 1
		.amdhsa_reserve_flat_scratch 0
		.amdhsa_float_round_mode_32 0
		.amdhsa_float_round_mode_16_64 0
		.amdhsa_float_denorm_mode_32 3
		.amdhsa_float_denorm_mode_16_64 3
		.amdhsa_dx10_clamp 1
		.amdhsa_ieee_mode 1
		.amdhsa_fp16_overflow 0
		.amdhsa_workgroup_processor_mode 1
		.amdhsa_memory_ordered 1
		.amdhsa_forward_progress 0
		.amdhsa_shared_vgpr_count 0
		.amdhsa_exception_fp_ieee_invalid_op 0
		.amdhsa_exception_fp_denorm_src 0
		.amdhsa_exception_fp_ieee_div_zero 0
		.amdhsa_exception_fp_ieee_overflow 0
		.amdhsa_exception_fp_ieee_underflow 0
		.amdhsa_exception_fp_ieee_inexact 0
		.amdhsa_exception_int_div_zero 0
	.end_amdhsa_kernel
	.text
.Lfunc_end0:
	.size	fft_rtc_back_len1820_factors_10_13_7_2_wgs_182_tpt_182_halfLds_half_op_CI_CI_unitstride_sbrr_R2C_dirReg, .Lfunc_end0-fft_rtc_back_len1820_factors_10_13_7_2_wgs_182_tpt_182_halfLds_half_op_CI_CI_unitstride_sbrr_R2C_dirReg
                                        ; -- End function
	.section	.AMDGPU.csdata,"",@progbits
; Kernel info:
; codeLenInByte = 10892
; NumSgprs: 29
; NumVgprs: 149
; ScratchSize: 0
; MemoryBound: 0
; FloatMode: 240
; IeeeMode: 1
; LDSByteSize: 0 bytes/workgroup (compile time only)
; SGPRBlocks: 3
; VGPRBlocks: 18
; NumSGPRsForWavesPerEU: 29
; NumVGPRsForWavesPerEU: 149
; Occupancy: 6
; WaveLimiterHint : 1
; COMPUTE_PGM_RSRC2:SCRATCH_EN: 0
; COMPUTE_PGM_RSRC2:USER_SGPR: 6
; COMPUTE_PGM_RSRC2:TRAP_HANDLER: 0
; COMPUTE_PGM_RSRC2:TGID_X_EN: 1
; COMPUTE_PGM_RSRC2:TGID_Y_EN: 0
; COMPUTE_PGM_RSRC2:TGID_Z_EN: 0
; COMPUTE_PGM_RSRC2:TIDIG_COMP_CNT: 0
	.text
	.p2alignl 6, 3214868480
	.fill 48, 4, 3214868480
	.type	__hip_cuid_288f30b5bc592ef,@object ; @__hip_cuid_288f30b5bc592ef
	.section	.bss,"aw",@nobits
	.globl	__hip_cuid_288f30b5bc592ef
__hip_cuid_288f30b5bc592ef:
	.byte	0                               ; 0x0
	.size	__hip_cuid_288f30b5bc592ef, 1

	.ident	"AMD clang version 19.0.0git (https://github.com/RadeonOpenCompute/llvm-project roc-6.4.0 25133 c7fe45cf4b819c5991fe208aaa96edf142730f1d)"
	.section	".note.GNU-stack","",@progbits
	.addrsig
	.addrsig_sym __hip_cuid_288f30b5bc592ef
	.amdgpu_metadata
---
amdhsa.kernels:
  - .args:
      - .actual_access:  read_only
        .address_space:  global
        .offset:         0
        .size:           8
        .value_kind:     global_buffer
      - .offset:         8
        .size:           8
        .value_kind:     by_value
      - .actual_access:  read_only
        .address_space:  global
        .offset:         16
        .size:           8
        .value_kind:     global_buffer
      - .actual_access:  read_only
        .address_space:  global
        .offset:         24
        .size:           8
        .value_kind:     global_buffer
      - .actual_access:  read_only
        .address_space:  global
        .offset:         32
        .size:           8
        .value_kind:     global_buffer
      - .offset:         40
        .size:           8
        .value_kind:     by_value
      - .actual_access:  read_only
        .address_space:  global
        .offset:         48
        .size:           8
        .value_kind:     global_buffer
      - .actual_access:  read_only
        .address_space:  global
        .offset:         56
        .size:           8
        .value_kind:     global_buffer
      - .offset:         64
        .size:           4
        .value_kind:     by_value
      - .actual_access:  read_only
        .address_space:  global
        .offset:         72
        .size:           8
        .value_kind:     global_buffer
      - .actual_access:  read_only
        .address_space:  global
        .offset:         80
        .size:           8
        .value_kind:     global_buffer
      - .actual_access:  read_only
        .address_space:  global
        .offset:         88
        .size:           8
        .value_kind:     global_buffer
      - .actual_access:  write_only
        .address_space:  global
        .offset:         96
        .size:           8
        .value_kind:     global_buffer
    .group_segment_fixed_size: 0
    .kernarg_segment_align: 8
    .kernarg_segment_size: 104
    .language:       OpenCL C
    .language_version:
      - 2
      - 0
    .max_flat_workgroup_size: 182
    .name:           fft_rtc_back_len1820_factors_10_13_7_2_wgs_182_tpt_182_halfLds_half_op_CI_CI_unitstride_sbrr_R2C_dirReg
    .private_segment_fixed_size: 0
    .sgpr_count:     29
    .sgpr_spill_count: 0
    .symbol:         fft_rtc_back_len1820_factors_10_13_7_2_wgs_182_tpt_182_halfLds_half_op_CI_CI_unitstride_sbrr_R2C_dirReg.kd
    .uniform_work_group_size: 1
    .uses_dynamic_stack: false
    .vgpr_count:     149
    .vgpr_spill_count: 0
    .wavefront_size: 32
    .workgroup_processor_mode: 1
amdhsa.target:   amdgcn-amd-amdhsa--gfx1030
amdhsa.version:
  - 1
  - 2
...

	.end_amdgpu_metadata
